;; amdgpu-corpus repo=ROCm/rocFFT kind=compiled arch=gfx950 opt=O3
	.text
	.amdgcn_target "amdgcn-amd-amdhsa--gfx950"
	.amdhsa_code_object_version 6
	.protected	fft_rtc_back_len336_factors_6_7_8_wgs_336_tpt_56_sp_op_CI_CI_sbcc_twdbase8_3step_dirReg_intrinsicRead ; -- Begin function fft_rtc_back_len336_factors_6_7_8_wgs_336_tpt_56_sp_op_CI_CI_sbcc_twdbase8_3step_dirReg_intrinsicRead
	.globl	fft_rtc_back_len336_factors_6_7_8_wgs_336_tpt_56_sp_op_CI_CI_sbcc_twdbase8_3step_dirReg_intrinsicRead
	.p2align	8
	.type	fft_rtc_back_len336_factors_6_7_8_wgs_336_tpt_56_sp_op_CI_CI_sbcc_twdbase8_3step_dirReg_intrinsicRead,@function
fft_rtc_back_len336_factors_6_7_8_wgs_336_tpt_56_sp_op_CI_CI_sbcc_twdbase8_3step_dirReg_intrinsicRead: ; @fft_rtc_back_len336_factors_6_7_8_wgs_336_tpt_56_sp_op_CI_CI_sbcc_twdbase8_3step_dirReg_intrinsicRead
; %bb.0:
	s_load_dwordx4 s[20:23], s[0:1], 0x18
	s_load_dwordx2 s[30:31], s[0:1], 0x28
	s_mov_b32 s3, 0
	s_mov_b64 s[26:27], 0
	s_waitcnt lgkmcnt(0)
	s_load_dwordx2 s[28:29], s[20:21], 0x8
	s_waitcnt lgkmcnt(0)
	s_add_u32 s4, s28, -1
	s_addc_u32 s5, s29, -1
	s_add_u32 s6, 0, 0xaaa80000
	s_addc_u32 s7, 0, 0xaa
	s_mul_hi_u32 s9, s6, -6
	s_add_i32 s7, s7, 0x2aaaaa00
	s_sub_i32 s9, s9, s6
	s_mul_i32 s12, s7, -6
	s_mul_i32 s8, s6, -6
	s_add_i32 s9, s9, s12
	s_mul_hi_u32 s10, s7, s8
	s_mul_i32 s11, s7, s8
	s_mul_i32 s13, s6, s9
	s_mul_hi_u32 s8, s6, s8
	s_mul_hi_u32 s12, s6, s9
	s_add_u32 s8, s8, s13
	s_addc_u32 s12, 0, s12
	s_add_u32 s8, s8, s11
	s_mul_hi_u32 s13, s7, s9
	s_addc_u32 s8, s12, s10
	s_addc_u32 s10, s13, 0
	s_mul_i32 s9, s7, s9
	s_add_u32 s8, s8, s9
	v_mov_b32_e32 v1, s8
	s_addc_u32 s9, 0, s10
	v_add_co_u32_e32 v1, vcc, s6, v1
	s_cmp_lg_u64 vcc, 0
	s_addc_u32 s6, s7, s9
	v_readfirstlane_b32 s9, v1
	s_mul_i32 s8, s4, s6
	s_mul_hi_u32 s10, s4, s9
	s_mul_hi_u32 s7, s4, s6
	s_add_u32 s8, s10, s8
	s_addc_u32 s7, 0, s7
	s_mul_hi_u32 s11, s5, s9
	s_mul_i32 s9, s5, s9
	s_add_u32 s8, s8, s9
	s_mul_hi_u32 s10, s5, s6
	s_addc_u32 s7, s7, s11
	s_addc_u32 s8, s10, 0
	s_mul_i32 s6, s5, s6
	s_add_u32 s6, s7, s6
	s_addc_u32 s7, 0, s8
	s_add_u32 s8, s6, 1
	s_addc_u32 s9, s7, 0
	s_add_u32 s10, s6, 2
	s_mul_i32 s12, s7, 6
	s_mul_hi_u32 s13, s6, 6
	s_addc_u32 s11, s7, 0
	s_add_i32 s13, s13, s12
	s_mul_i32 s12, s6, 6
	v_mov_b32_e32 v1, s12
	v_sub_co_u32_e32 v1, vcc, s4, v1
	s_cmp_lg_u64 vcc, 0
	s_subb_u32 s4, s5, s13
	v_subrev_co_u32_e32 v2, vcc, 6, v1
	s_cmp_lg_u64 vcc, 0
	s_subb_u32 s5, s4, 0
	v_readfirstlane_b32 s12, v2
	s_cmp_gt_u32 s12, 5
	s_cselect_b32 s12, -1, 0
	s_cmp_eq_u32 s5, 0
	s_cselect_b32 s5, s12, -1
	s_cmp_lg_u32 s5, 0
	s_cselect_b32 s5, s10, s8
	s_cselect_b32 s8, s11, s9
	v_readfirstlane_b32 s9, v1
	s_cmp_gt_u32 s9, 5
	s_cselect_b32 s9, -1, 0
	s_cmp_eq_u32 s4, 0
	s_cselect_b32 s4, s9, -1
	s_cmp_lg_u32 s4, 0
	s_cselect_b32 s5, s5, s6
	s_cselect_b32 s4, s8, s7
	s_add_u32 s34, s5, 1
	s_addc_u32 s35, s4, 0
	v_mov_b64_e32 v[2:3], s[34:35]
	v_cmp_lt_u64_e32 vcc, s[2:3], v[2:3]
	s_cbranch_vccnz .LBB0_2
; %bb.1:
	v_cvt_f32_u32_e32 v1, s34
	s_sub_i32 s4, 0, s34
	s_mov_b32 s27, s3
	v_rcp_iflag_f32_e32 v1, v1
	s_nop 0
	v_mul_f32_e32 v1, 0x4f7ffffe, v1
	v_cvt_u32_f32_e32 v1, v1
	s_nop 0
	v_readfirstlane_b32 s5, v1
	s_mul_i32 s4, s4, s5
	s_mul_hi_u32 s4, s5, s4
	s_add_i32 s5, s5, s4
	s_mul_hi_u32 s4, s2, s5
	s_mul_i32 s6, s4, s34
	s_sub_i32 s6, s2, s6
	s_add_i32 s5, s4, 1
	s_sub_i32 s7, s6, s34
	s_cmp_ge_u32 s6, s34
	s_cselect_b32 s4, s5, s4
	s_cselect_b32 s6, s7, s6
	s_add_i32 s5, s4, 1
	s_cmp_ge_u32 s6, s34
	s_cselect_b32 s26, s5, s4
.LBB0_2:
	s_load_dwordx4 s[8:11], s[0:1], 0x60
	s_load_dwordx4 s[16:19], s[22:23], 0x0
	;; [unrolled: 1-line block ×3, first 2 shown]
	s_load_dwordx2 s[24:25], s[0:1], 0x0
	s_load_dwordx4 s[12:15], s[0:1], 0x8
	s_mul_i32 s0, s26, s35
	s_mul_hi_u32 s1, s26, s34
	s_add_i32 s1, s1, s0
	s_mul_i32 s0, s26, s34
	s_sub_u32 s0, s2, s0
	s_subb_u32 s1, 0, s1
	s_mul_i32 s1, s1, 6
	s_waitcnt lgkmcnt(0)
	s_mul_hi_u32 s17, s0, 6
	s_add_i32 s37, s17, s1
	s_mul_i32 s36, s0, 6
	s_mul_i32 s0, s18, s37
	s_mul_hi_u32 s1, s18, s36
	s_add_i32 s0, s1, s0
	s_mul_i32 s1, s19, s36
	s_add_i32 s19, s0, s1
	s_mul_i32 s0, s6, s37
	s_mul_hi_u32 s1, s6, s36
	s_add_i32 s0, s1, s0
	s_mul_i32 s1, s7, s36
	s_add_i32 s33, s0, s1
	v_cmp_lt_u64_e64 s[0:1], s[14:15], 3
	s_mul_i32 s17, s18, s36
	s_mul_i32 s50, s6, s36
	s_and_b64 vcc, exec, s[0:1]
	s_cbranch_vccnz .LBB0_12
; %bb.3:
	s_add_u32 s38, s30, 16
	s_addc_u32 s39, s31, 0
	s_add_u32 s40, s22, 16
	s_addc_u32 s41, s23, 0
	;; [unrolled: 2-line block ×3, first 2 shown]
	s_mov_b64 s[42:43], 2
	s_mov_b32 s44, 0
	v_mov_b64_e32 v[2:3], s[14:15]
.LBB0_4:                                ; =>This Inner Loop Header: Depth=1
	s_load_dwordx2 s[46:47], s[20:21], 0x0
	s_waitcnt lgkmcnt(0)
	s_or_b64 s[0:1], s[26:27], s[46:47]
	s_mov_b32 s45, s1
	s_cmp_lg_u64 s[44:45], 0
	s_cbranch_scc0 .LBB0_9
; %bb.5:                                ;   in Loop: Header=BB0_4 Depth=1
	v_cvt_f32_u32_e32 v1, s46
	v_cvt_f32_u32_e32 v4, s47
	s_sub_u32 s0, 0, s46
	s_subb_u32 s1, 0, s47
	v_fmac_f32_e32 v1, 0x4f800000, v4
	v_rcp_f32_e32 v1, v1
	s_nop 0
	v_mul_f32_e32 v1, 0x5f7ffffc, v1
	v_mul_f32_e32 v4, 0x2f800000, v1
	v_trunc_f32_e32 v4, v4
	v_fmac_f32_e32 v1, 0xcf800000, v4
	v_cvt_u32_f32_e32 v4, v4
	v_cvt_u32_f32_e32 v1, v1
	v_readfirstlane_b32 s45, v4
	v_readfirstlane_b32 s48, v1
	s_mul_i32 s49, s0, s45
	s_mul_hi_u32 s52, s0, s48
	s_mul_i32 s51, s1, s48
	s_add_i32 s49, s52, s49
	s_mul_i32 s53, s0, s48
	s_add_i32 s49, s49, s51
	s_mul_hi_u32 s51, s48, s49
	s_mul_i32 s52, s48, s49
	s_mul_hi_u32 s48, s48, s53
	s_add_u32 s48, s48, s52
	s_addc_u32 s51, 0, s51
	s_mul_hi_u32 s54, s45, s53
	s_mul_i32 s53, s45, s53
	s_add_u32 s48, s48, s53
	s_mul_hi_u32 s52, s45, s49
	s_addc_u32 s48, s51, s54
	s_addc_u32 s51, s52, 0
	s_mul_i32 s49, s45, s49
	s_add_u32 s48, s48, s49
	s_addc_u32 s49, 0, s51
	v_add_co_u32_e32 v1, vcc, s48, v1
	s_cmp_lg_u64 vcc, 0
	s_addc_u32 s45, s45, s49
	v_readfirstlane_b32 s49, v1
	s_mul_i32 s48, s0, s45
	s_mul_hi_u32 s51, s0, s49
	s_add_i32 s48, s51, s48
	s_mul_i32 s1, s1, s49
	s_add_i32 s48, s48, s1
	s_mul_i32 s0, s0, s49
	s_mul_hi_u32 s51, s45, s0
	s_mul_i32 s52, s45, s0
	s_mul_i32 s54, s49, s48
	s_mul_hi_u32 s0, s49, s0
	s_mul_hi_u32 s53, s49, s48
	s_add_u32 s0, s0, s54
	s_addc_u32 s49, 0, s53
	s_add_u32 s0, s0, s52
	s_mul_hi_u32 s1, s45, s48
	s_addc_u32 s0, s49, s51
	s_addc_u32 s1, s1, 0
	s_mul_i32 s48, s45, s48
	s_add_u32 s0, s0, s48
	s_addc_u32 s1, 0, s1
	v_add_co_u32_e32 v1, vcc, s0, v1
	s_cmp_lg_u64 vcc, 0
	s_addc_u32 s0, s45, s1
	v_readfirstlane_b32 s48, v1
	s_mul_i32 s45, s26, s0
	s_mul_hi_u32 s49, s26, s48
	s_mul_hi_u32 s1, s26, s0
	s_add_u32 s45, s49, s45
	s_addc_u32 s1, 0, s1
	s_mul_hi_u32 s51, s27, s48
	s_mul_i32 s48, s27, s48
	s_add_u32 s45, s45, s48
	s_mul_hi_u32 s49, s27, s0
	s_addc_u32 s1, s1, s51
	s_addc_u32 s45, s49, 0
	s_mul_i32 s0, s27, s0
	s_add_u32 s48, s1, s0
	s_addc_u32 s45, 0, s45
	s_mul_i32 s0, s46, s45
	s_mul_hi_u32 s1, s46, s48
	s_add_i32 s0, s1, s0
	s_mul_i32 s1, s47, s48
	s_add_i32 s49, s0, s1
	s_mul_i32 s1, s46, s48
	v_mov_b32_e32 v1, s1
	s_sub_i32 s0, s27, s49
	v_sub_co_u32_e32 v1, vcc, s26, v1
	s_cmp_lg_u64 vcc, 0
	s_subb_u32 s51, s0, s47
	v_subrev_co_u32_e64 v4, s[0:1], s46, v1
	s_cmp_lg_u64 s[0:1], 0
	s_subb_u32 s0, s51, 0
	s_cmp_ge_u32 s0, s47
	v_readfirstlane_b32 s51, v4
	s_cselect_b32 s1, -1, 0
	s_cmp_ge_u32 s51, s46
	s_cselect_b32 s51, -1, 0
	s_cmp_eq_u32 s0, s47
	s_cselect_b32 s0, s51, s1
	s_add_u32 s1, s48, 1
	s_addc_u32 s51, s45, 0
	s_add_u32 s52, s48, 2
	s_addc_u32 s53, s45, 0
	s_cmp_lg_u32 s0, 0
	s_cselect_b32 s0, s52, s1
	s_cselect_b32 s1, s53, s51
	s_cmp_lg_u64 vcc, 0
	s_subb_u32 s49, s27, s49
	s_cmp_ge_u32 s49, s47
	v_readfirstlane_b32 s52, v1
	s_cselect_b32 s51, -1, 0
	s_cmp_ge_u32 s52, s46
	s_cselect_b32 s52, -1, 0
	s_cmp_eq_u32 s49, s47
	s_cselect_b32 s49, s52, s51
	s_cmp_lg_u32 s49, 0
	s_cselect_b32 s1, s1, s45
	s_cselect_b32 s0, s0, s48
	s_cbranch_execnz .LBB0_7
.LBB0_6:                                ;   in Loop: Header=BB0_4 Depth=1
	v_cvt_f32_u32_e32 v1, s46
	s_sub_i32 s0, 0, s46
	v_rcp_iflag_f32_e32 v1, v1
	s_nop 0
	v_mul_f32_e32 v1, 0x4f7ffffe, v1
	v_cvt_u32_f32_e32 v1, v1
	s_nop 0
	v_readfirstlane_b32 s1, v1
	s_mul_i32 s0, s0, s1
	s_mul_hi_u32 s0, s1, s0
	s_add_i32 s1, s1, s0
	s_mul_hi_u32 s0, s26, s1
	s_mul_i32 s45, s0, s46
	s_sub_i32 s45, s26, s45
	s_add_i32 s1, s0, 1
	s_sub_i32 s48, s45, s46
	s_cmp_ge_u32 s45, s46
	s_cselect_b32 s0, s1, s0
	s_cselect_b32 s45, s48, s45
	s_add_i32 s1, s0, 1
	s_cmp_ge_u32 s45, s46
	s_cselect_b32 s0, s1, s0
	s_mov_b32 s1, s44
.LBB0_7:                                ;   in Loop: Header=BB0_4 Depth=1
	s_mul_i32 s35, s46, s35
	s_mul_hi_u32 s45, s46, s34
	s_add_i32 s35, s45, s35
	s_mul_i32 s45, s47, s34
	s_add_i32 s35, s35, s45
	s_mul_i32 s45, s0, s47
	s_mul_hi_u32 s47, s0, s46
	s_load_dwordx2 s[48:49], s[40:41], 0x0
	s_add_i32 s45, s47, s45
	s_mul_i32 s47, s1, s46
	s_mul_i32 s34, s46, s34
	s_add_i32 s45, s45, s47
	s_mul_i32 s46, s0, s46
	s_sub_u32 s46, s26, s46
	s_subb_u32 s45, s27, s45
	s_waitcnt lgkmcnt(0)
	s_mul_i32 s26, s48, s45
	s_mul_hi_u32 s27, s48, s46
	s_add_i32 s47, s27, s26
	s_load_dwordx2 s[26:27], s[38:39], 0x0
	s_mul_i32 s49, s49, s46
	s_add_i32 s47, s47, s49
	s_mul_i32 s48, s48, s46
	s_add_u32 s17, s48, s17
	s_addc_u32 s19, s47, s19
	s_waitcnt lgkmcnt(0)
	s_mul_i32 s45, s26, s45
	s_mul_hi_u32 s47, s26, s46
	s_add_i32 s45, s47, s45
	s_mul_i32 s27, s27, s46
	s_add_i32 s45, s45, s27
	s_mul_i32 s26, s26, s46
	s_add_u32 s50, s26, s50
	s_addc_u32 s33, s45, s33
	s_add_u32 s42, s42, 1
	s_addc_u32 s43, s43, 0
	;; [unrolled: 2-line block ×4, first 2 shown]
	s_add_u32 s20, s20, 8
	v_cmp_ge_u64_e32 vcc, s[42:43], v[2:3]
	s_addc_u32 s21, s21, 0
	s_cbranch_vccnz .LBB0_10
; %bb.8:                                ;   in Loop: Header=BB0_4 Depth=1
	s_mov_b64 s[26:27], s[0:1]
	s_branch .LBB0_4
.LBB0_9:                                ;   in Loop: Header=BB0_4 Depth=1
                                        ; implicit-def: $sgpr0_sgpr1
	s_branch .LBB0_6
.LBB0_10:
	v_mov_b64_e32 v[2:3], s[34:35]
	v_cmp_lt_u64_e32 vcc, s[2:3], v[2:3]
	s_mov_b64 s[26:27], 0
	s_cbranch_vccnz .LBB0_12
; %bb.11:
	v_cvt_f32_u32_e32 v1, s34
	s_sub_i32 s0, 0, s34
	v_rcp_iflag_f32_e32 v1, v1
	s_nop 0
	v_mul_f32_e32 v1, 0x4f7ffffe, v1
	v_cvt_u32_f32_e32 v1, v1
	s_nop 0
	v_readfirstlane_b32 s1, v1
	s_mul_i32 s0, s0, s1
	s_mul_hi_u32 s0, s1, s0
	s_add_i32 s1, s1, s0
	s_mul_hi_u32 s0, s2, s1
	s_mul_i32 s3, s0, s34
	s_sub_i32 s2, s2, s3
	s_add_i32 s1, s0, 1
	s_sub_i32 s3, s2, s34
	s_cmp_ge_u32 s2, s34
	s_cselect_b32 s0, s1, s0
	s_cselect_b32 s2, s3, s2
	s_add_i32 s1, s0, 1
	s_cmp_ge_u32 s2, s34
	s_cselect_b32 s26, s1, s0
.LBB0_12:
	s_lshl_b64 s[0:1], s[14:15], 3
	s_add_u32 s2, s22, s0
	s_addc_u32 s3, s23, s1
	s_load_dwordx2 s[2:3], s[2:3], 0x0
	v_mul_u32_u24_e32 v1, 0x2aab, v0
	v_lshrrev_b32_e32 v25, 16, v1
	v_mul_lo_u16_e32 v1, 6, v25
	v_sub_u16_e32 v14, v0, v1
	s_waitcnt lgkmcnt(0)
	s_mul_i32 s2, s2, s26
	s_add_u32 s17, s2, s17
	s_add_u32 s2, s30, s0
	s_addc_u32 s3, s31, s1
	s_add_u32 s0, s36, 6
	v_mov_b32_e32 v15, 0
	s_addc_u32 s1, s37, 0
	v_mov_b64_e32 v[2:3], s[28:29]
	v_lshl_add_u64 v[16:17], s[36:37], 0, v[14:15]
	v_cmp_le_u64_e32 vcc, s[0:1], v[2:3]
	v_mad_u64_u32 v[8:9], s[0:1], s18, v14, 0
	v_cmp_gt_u64_e64 s[0:1], s[28:29], v[16:17]
	s_or_b64 s[14:15], vcc, s[0:1]
	v_mov_b32_e32 v4, v15
	v_mov_b32_e32 v2, v15
	s_and_saveexec_b64 s[18:19], s[14:15]
	s_cbranch_execz .LBB0_14
; %bb.13:
	v_mul_lo_u32 v1, s16, v25
	v_add3_u32 v2, s17, v8, v1
	v_mov_b32_e32 v3, v15
	v_lshl_add_u64 v[2:3], v[2:3], 3, s[8:9]
	global_load_dwordx2 v[4:5], v[2:3], off
	s_waitcnt vmcnt(0)
	v_mov_b32_e32 v2, v5
.LBB0_14:
	s_or_b64 exec, exec, s[18:19]
	v_and_b32_e32 v24, 0xffff, v25
	v_mov_b32_e32 v7, 0
	s_and_saveexec_b64 s[18:19], s[14:15]
	s_cbranch_execz .LBB0_16
; %bb.15:
	v_add_u32_e32 v1, 56, v24
	v_mul_lo_u32 v1, s16, v1
	v_add3_u32 v6, s17, v8, v1
	v_mov_b32_e32 v7, 0
	v_lshl_add_u64 v[6:7], v[6:7], 3, s[8:9]
	global_load_dwordx2 v[6:7], v[6:7], off
	s_waitcnt vmcnt(0)
	v_mov_b32_e32 v15, v6
.LBB0_16:
	s_or_b64 exec, exec, s[18:19]
	v_mov_b32_e32 v10, 0
	v_mov_b32_e32 v12, 0
	;; [unrolled: 1-line block ×3, first 2 shown]
	s_and_saveexec_b64 s[18:19], s[14:15]
	s_cbranch_execz .LBB0_18
; %bb.17:
	v_add_u32_e32 v1, 0x70, v24
	v_mul_lo_u32 v1, s16, v1
	v_add3_u32 v12, s17, v8, v1
	v_mov_b32_e32 v13, 0
	v_lshl_add_u64 v[12:13], v[12:13], 3, s[8:9]
	global_load_dwordx2 v[12:13], v[12:13], off
.LBB0_18:
	s_or_b64 exec, exec, s[18:19]
	v_add_u32_e32 v26, 0xa8, v24
	v_mov_b32_e32 v11, 0
	s_and_saveexec_b64 s[18:19], s[14:15]
	s_cbranch_execz .LBB0_20
; %bb.19:
	v_mul_lo_u32 v1, s16, v26
	v_add3_u32 v18, s17, v8, v1
	v_mov_b32_e32 v19, v10
	v_lshl_add_u64 v[10:11], v[18:19], 3, s[8:9]
	global_load_dwordx2 v[10:11], v[10:11], off
.LBB0_20:
	s_or_b64 exec, exec, s[18:19]
	v_mov_b32_e32 v18, 0
	v_mov_b32_e32 v20, 0
	;; [unrolled: 1-line block ×3, first 2 shown]
	s_and_saveexec_b64 s[18:19], s[14:15]
	s_cbranch_execz .LBB0_22
; %bb.21:
	v_add_u32_e32 v1, 0xe0, v24
	v_mul_lo_u32 v1, s16, v1
	v_add3_u32 v20, s17, v8, v1
	v_mov_b32_e32 v21, 0
	v_lshl_add_u64 v[20:21], v[20:21], 3, s[8:9]
	global_load_dwordx2 v[20:21], v[20:21], off
.LBB0_22:
	s_or_b64 exec, exec, s[18:19]
	v_mov_b32_e32 v19, 0
	s_and_saveexec_b64 s[18:19], s[14:15]
	s_cbranch_execz .LBB0_24
; %bb.23:
	v_add_u32_e32 v1, 0x118, v24
	v_mul_lo_u32 v1, s16, v1
	v_add3_u32 v8, s17, v8, v1
	v_mov_b32_e32 v9, 0
	v_lshl_add_u64 v[8:9], v[8:9], 3, s[8:9]
	global_load_dwordx2 v[18:19], v[8:9], off
.LBB0_24:
	s_or_b64 exec, exec, s[18:19]
	s_waitcnt vmcnt(0)
	v_pk_add_f32 v[8:9], v[12:13], v[20:21]
	v_mov_b32_e32 v5, v15
	v_mov_b32_e32 v30, v12
	;; [unrolled: 1-line block ×3, first 2 shown]
	v_fma_f32 v8, -0.5, v8, v4
	s_mov_b32 s14, 0x3f5db3d7
	v_pk_add_f32 v[4:5], v[4:5], v[30:31]
	v_mov_b32_e32 v30, v20
	v_mov_b32_e32 v31, v18
	s_mov_b32 s15, 0.5
	v_pk_add_f32 v[4:5], v[4:5], v[30:31]
	v_pk_add_f32 v[30:31], v[10:11], v[18:19]
	v_pk_add_f32 v[32:33], v[10:11], v[18:19] neg_lo:[0,1] neg_hi:[0,1]
	v_mov_b32_e32 v3, v7
	v_mov_b32_e32 v10, v13
	;; [unrolled: 1-line block ×3, first 2 shown]
	v_pk_add_f32 v[22:23], v[12:13], v[20:21] neg_lo:[0,1] neg_hi:[0,1]
	v_mov_b32_e32 v12, v2
	v_pk_add_f32 v[2:3], v[2:3], v[10:11]
	v_mov_b32_e32 v18, v21
	v_pk_mul_f32 v[10:11], v[32:33], s[14:15] op_sel_hi:[1,0]
	v_pk_add_f32 v[18:19], v[2:3], v[18:19]
	v_pk_fma_f32 v[6:7], -0.5, v[30:31], v[6:7] op_sel_hi:[0,1,1]
	v_mov_b32_e32 v1, v10
	s_load_dwordx2 s[8:9], s[2:3], 0x0
	s_mov_b32 s2, -0.5
	v_pk_add_f32 v[20:21], v[6:7], v[10:11] op_sel:[0,1] op_sel_hi:[1,0] neg_lo:[0,1] neg_hi:[0,1]
	s_mov_b32 s3, s14
	v_mov_b32_e32 v34, v4
	v_mov_b32_e32 v35, v18
	;; [unrolled: 1-line block ×3, first 2 shown]
	v_pk_add_f32 v[4:5], v[0:1], v[6:7]
	v_fmac_f32_e32 v12, -0.5, v9
	v_pk_add_f32 v[30:31], v[6:7], v[10:11] op_sel:[0,1] op_sel_hi:[1,0]
	v_pk_mul_f32 v[2:3], v[20:21], s[2:3]
	v_mul_f32_e32 v13, 0x3f5db3d7, v20
	v_mov_b32_e32 v4, v22
	v_pk_mul_f32 v[6:7], v[22:23], s[14:15]
	v_mov_b32_e32 v31, v21
	v_mov_b32_e32 v2, v3
	v_mul_f32_e32 v22, 0xbf5db3d7, v5
	v_pk_fma_f32 v[4:5], v[4:5], s[14:15], v[12:13]
	v_mul_f32_e32 v13, 0x3f5db3d7, v30
	v_mul_f32_e32 v7, 0.5, v21
	v_pk_fma_f32 v[32:33], v[30:31], s[2:3], v[2:3] neg_lo:[0,0,1] neg_hi:[0,0,1]
	v_pk_add_f32 v[6:7], v[12:13], v[6:7] neg_lo:[0,1] neg_hi:[0,1]
	s_movk_i32 s2, 0x120
	v_fmamk_f32 v28, v23, 0xbf5db3d7, v8
	v_fmac_f32_e32 v8, 0x3f5db3d7, v23
	v_fmac_f32_e32 v22, 0.5, v20
	v_mad_u32_u24 v15, v24, s2, 0
	v_mov_b32_e32 v29, v4
	v_mov_b32_e32 v23, v5
	;; [unrolled: 1-line block ×4, first 2 shown]
	v_pk_add_f32 v[2:3], v[34:35], v[18:19]
	v_lshl_add_u32 v1, v14, 3, v15
	v_pk_add_f32 v[4:5], v[28:29], v[22:23]
	v_pk_add_f32 v[10:11], v[8:9], v[32:33]
	v_pk_add_f32 v[12:13], v[34:35], v[18:19] neg_lo:[0,1] neg_hi:[0,1]
	v_pk_add_f32 v[6:7], v[28:29], v[22:23] neg_lo:[0,1] neg_hi:[0,1]
	;; [unrolled: 1-line block ×3, first 2 shown]
	ds_write2_b64 v1, v[2:3], v[4:5] offset1:6
	ds_write2_b64 v1, v[10:11], v[12:13] offset0:12 offset1:18
	ds_write2_b64 v1, v[6:7], v[8:9] offset0:24 offset1:30
	v_cmp_gt_u32_e64 s[2:3], s2, v0
	v_lshlrev_b32_e32 v1, 3, v14
	s_waitcnt lgkmcnt(0)
	s_barrier
	s_waitcnt lgkmcnt(0)
                                        ; implicit-def: $vgpr18
                                        ; implicit-def: $vgpr20
	s_and_saveexec_b64 s[14:15], s[2:3]
	s_cbranch_execz .LBB0_26
; %bb.25:
	v_mul_i32_i24_e32 v2, 0xffffff10, v24
	v_add3_u32 v12, v15, v2, v1
	ds_read_b64 v[6:7], v12 offset:9216
	ds_read_b64 v[8:9], v12 offset:11520
	;; [unrolled: 1-line block ×3, first 2 shown]
	ds_read_b64 v[2:3], v12
	ds_read_b64 v[4:5], v12 offset:2304
	ds_read_b64 v[10:11], v12 offset:4608
	;; [unrolled: 1-line block ×3, first 2 shown]
	s_waitcnt lgkmcnt(4)
	v_mov_b32_e32 v18, v21
.LBB0_26:
	s_or_b64 exec, exec, s[14:15]
	v_mul_lo_u16_e32 v15, 43, v24
	v_lshrrev_b16_e32 v15, 8, v15
	v_mul_lo_u16_e32 v17, 6, v15
	v_sub_u16_e32 v17, v24, v17
	v_and_b32_e32 v17, 0xff, v17
	v_mul_u32_u24_e32 v19, 6, v17
	v_lshlrev_b32_e32 v19, 3, v19
	global_load_dwordx4 v[28:31], v19, s[24:25]
	global_load_dwordx4 v[32:35], v19, s[24:25] offset:16
	global_load_dwordx4 v[36:39], v19, s[24:25] offset:32
	s_waitcnt lgkmcnt(2)
	v_mov_b32_e32 v22, v5
	v_mov_b32_e32 v40, v5
	s_waitcnt lgkmcnt(1)
	v_mov_b32_e32 v42, v11
	v_mov_b32_e32 v44, v11
	;; [unrolled: 3-line block ×3, first 2 shown]
	v_mov_b32_e32 v50, v7
	v_mov_b32_e32 v52, v7
	;; [unrolled: 1-line block ×4, first 2 shown]
	s_mov_b32 s16, 0xbeae86e6
	s_mov_b32 s17, 0x3f08b237
	;; [unrolled: 1-line block ×8, first 2 shown]
	s_barrier
	s_waitcnt vmcnt(2)
	v_pk_mul_f32 v[4:5], v[4:5], v[28:29] op_sel_hi:[0,1]
	v_pk_mul_f32 v[10:11], v[10:11], v[30:31] op_sel_hi:[0,1]
	s_waitcnt vmcnt(1)
	v_pk_mul_f32 v[12:13], v[12:13], v[32:33] op_sel_hi:[0,1]
	v_pk_mul_f32 v[6:7], v[6:7], v[34:35] op_sel_hi:[0,1]
	;; [unrolled: 3-line block ×3, first 2 shown]
	v_pk_fma_f32 v[22:23], v[22:23], v[28:29], v[4:5] op_sel:[0,0,1] op_sel_hi:[1,1,0] neg_lo:[0,0,1] neg_hi:[0,0,1]
	v_pk_fma_f32 v[4:5], v[40:41], v[28:29], v[4:5] op_sel:[0,0,1] op_sel_hi:[0,1,0]
	v_pk_fma_f32 v[28:29], v[42:43], v[30:31], v[10:11] op_sel:[0,0,1] op_sel_hi:[1,1,0] neg_lo:[0,0,1] neg_hi:[0,0,1]
	v_pk_fma_f32 v[10:11], v[44:45], v[30:31], v[10:11] op_sel:[0,0,1] op_sel_hi:[0,1,0]
	;; [unrolled: 2-line block ×6, first 2 shown]
	v_mov_b32_e32 v23, v5
	v_mov_b32_e32 v29, v11
	;; [unrolled: 1-line block ×7, first 2 shown]
	v_pk_add_f32 v[12:13], v[22:23], v[36:37] neg_lo:[0,1] neg_hi:[0,1]
	v_pk_add_f32 v[18:19], v[28:29], v[34:35] neg_lo:[0,1] neg_hi:[0,1]
	;; [unrolled: 1-line block ×3, first 2 shown]
	v_pk_add_f32 v[22:23], v[22:23], v[36:37]
	v_pk_add_f32 v[28:29], v[28:29], v[34:35]
	v_mov_b32_e32 v5, v30
	v_mov_b32_e32 v9, v32
	;; [unrolled: 1-line block ×11, first 2 shown]
	v_pk_add_f32 v[30:31], v[20:21], v[18:19]
	v_mov_b32_e32 v36, v12
	v_mov_b32_e32 v37, v21
	;; [unrolled: 1-line block ×3, first 2 shown]
	v_pk_add_f32 v[32:33], v[32:33], v[34:35] neg_lo:[0,1] neg_hi:[0,1]
	v_pk_add_f32 v[4:5], v[4:5], v[8:9]
	v_pk_add_f32 v[6:7], v[6:7], v[10:11]
	v_pk_add_f32 v[38:39], v[28:29], v[22:23] neg_lo:[0,1] neg_hi:[0,1]
	v_mov_b32_e32 v41, v22
	v_mov_b32_e32 v22, v29
	;; [unrolled: 1-line block ×4, first 2 shown]
	v_pk_add_f32 v[20:21], v[36:37], v[20:21] neg_lo:[0,1] neg_hi:[0,1]
	v_pk_mul_f32 v[10:11], v[32:33], s[22:23]
	v_mov_b32_e32 v40, v6
	v_mov_b32_e32 v23, v5
	;; [unrolled: 1-line block ×4, first 2 shown]
	v_pk_add_f32 v[18:19], v[18:19], v[12:13] neg_lo:[0,1] neg_hi:[0,1]
	v_pk_add_f32 v[12:13], v[30:31], v[12:13]
	v_pk_mul_f32 v[8:9], v[20:21], s[16:17]
	v_pk_add_f32 v[4:5], v[4:5], v[6:7]
	v_pk_fma_f32 v[6:7], v[20:21], s[16:17], v[10:11]
	v_pk_add_f32 v[20:21], v[40:41], v[22:23] neg_lo:[0,1] neg_hi:[0,1]
	v_pk_add_f32 v[22:23], v[42:43], v[28:29] neg_lo:[0,1] neg_hi:[0,1]
	s_mov_b32 s16, s21
	s_mov_b32 s17, s20
	v_pk_fma_f32 v[28:29], v[12:13], s[14:15], v[6:7] op_sel_hi:[1,0,1]
	v_pk_mul_f32 v[6:7], v[20:21], s[20:21]
	v_pk_mul_f32 v[20:21], v[22:23], s[16:17]
	s_mov_b32 s20, 0x3f3bfb3b
	v_pk_add_f32 v[2:3], v[2:3], v[4:5]
	v_pk_mul_f32 v[30:31], v[38:39], s[20:21] op_sel_hi:[1,0]
	s_mov_b32 s20, 0xbf5ff5aa
	v_pk_fma_f32 v[22:23], v[22:23], s[16:17], v[6:7]
	v_mov_b32_e32 v32, v20
	v_mov_b32_e32 v33, v7
	;; [unrolled: 1-line block ×6, first 2 shown]
	v_pk_fma_f32 v[4:5], v[4:5], s[18:19], v[2:3] op_sel_hi:[1,0,1]
	v_pk_add_f32 v[32:33], v[32:33], v[30:31] op_sel:[0,1] op_sel_hi:[1,0] neg_lo:[1,1] neg_hi:[1,1]
	v_pk_fma_f32 v[34:35], v[18:19], s[20:21], v[34:35] op_sel_hi:[1,0,1] neg_lo:[1,0,1] neg_hi:[1,0,1]
	v_pk_add_f32 v[6:7], v[30:31], v[6:7] op_sel:[1,0] op_sel_hi:[0,1] neg_lo:[0,1] neg_hi:[0,1]
	v_pk_fma_f32 v[8:9], v[18:19], s[20:21], v[10:11] op_sel_hi:[1,0,1] neg_lo:[0,0,1] neg_hi:[0,0,1]
	v_pk_add_f32 v[22:23], v[22:23], v[4:5]
	v_pk_add_f32 v[32:33], v[32:33], v[4:5]
	;; [unrolled: 1-line block ×3, first 2 shown]
	v_pk_fma_f32 v[8:9], v[12:13], s[14:15], v[8:9] op_sel_hi:[1,0,1]
	v_pk_fma_f32 v[10:11], v[12:13], s[14:15], v[34:35] op_sel_hi:[1,0,1]
	v_pk_add_f32 v[6:7], v[22:23], v[28:29]
	v_pk_add_f32 v[18:19], v[22:23], v[28:29] neg_lo:[0,1] neg_hi:[0,1]
	v_pk_add_f32 v[12:13], v[32:33], v[10:11]
	v_pk_add_f32 v[20:21], v[32:33], v[10:11] neg_lo:[0,1] neg_hi:[0,1]
	v_pk_add_f32 v[10:11], v[4:5], v[8:9] neg_lo:[0,1] neg_hi:[0,1]
	v_pk_add_f32 v[22:23], v[4:5], v[8:9]
	s_and_saveexec_b64 s[14:15], s[2:3]
	s_cbranch_execz .LBB0_28
; %bb.27:
	v_mad_u32_u24 v4, v15, 42, v17
	v_mul_u32_u24_e32 v4, 48, v4
	v_add3_u32 v15, 0, v4, v1
	v_mov_b32_e32 v4, v6
	v_mov_b32_e32 v5, v19
	ds_write2_b64 v15, v[2:3], v[4:5] offset1:36
	v_mov_b32_e32 v4, v12
	v_mov_b32_e32 v5, v21
	;; [unrolled: 1-line block ×4, first 2 shown]
	ds_write2_b64 v15, v[4:5], v[8:9] offset0:72 offset1:108
	v_mov_b32_e32 v4, v22
	v_mov_b32_e32 v5, v11
	;; [unrolled: 1-line block ×4, first 2 shown]
	ds_write2_b64 v15, v[4:5], v[8:9] offset0:144 offset1:180
	v_mov_b32_e32 v4, v18
	v_mov_b32_e32 v5, v7
	ds_write_b64 v15, v[4:5] offset:1728
.LBB0_28:
	s_or_b64 exec, exec, s[14:15]
	s_movk_i32 s2, 0xfc
	v_cmp_gt_u32_e64 s[2:3], s2, v0
	s_waitcnt lgkmcnt(0)
	s_barrier
	s_waitcnt lgkmcnt(0)
                                        ; implicit-def: $vgpr0
	s_and_saveexec_b64 s[14:15], s[2:3]
	s_cbranch_execz .LBB0_30
; %bb.29:
	v_mul_u32_u24_e32 v0, 48, v24
	v_add3_u32 v0, 0, v0, v1
	v_add_u32_e32 v1, 0x2f40, v0
	ds_read2_b64 v[2:5], v0 offset1:252
	ds_read2_b64 v[6:9], v1 offset1:252
	v_add_u32_e32 v1, 0x1f80, v0
	v_add_u32_e32 v0, 0xfc0, v0
	ds_read2_b64 v[10:13], v1 offset1:252
	ds_read2_b64 v[28:31], v0 offset1:252
	s_waitcnt lgkmcnt(2)
	v_mov_b32_e32 v0, v9
	v_mov_b32_e32 v18, v6
	;; [unrolled: 1-line block ×3, first 2 shown]
	s_waitcnt lgkmcnt(1)
	v_mov_b32_e32 v20, v12
	v_mov_b32_e32 v22, v10
	s_waitcnt lgkmcnt(0)
	v_mov_b32_e32 v23, v31
	v_mov_b32_e32 v10, v30
	;; [unrolled: 1-line block ×5, first 2 shown]
.LBB0_30:
	s_or_b64 exec, exec, s[14:15]
	v_mul_lo_u16_e32 v1, 49, v24
	v_lshrrev_b16_e32 v1, 11, v1
	v_mul_lo_u16_e32 v1, 42, v1
	v_sub_u16_e32 v1, v24, v1
	v_and_b32_e32 v15, 0xff, v1
	v_mul_lo_u32 v1, v16, v15
	v_mov_b32_e32 v17, 3
	v_lshlrev_b32_sdwa v9, v17, v1 dst_sel:DWORD dst_unused:UNUSED_PAD src0_sel:DWORD src1_sel:BYTE_0
	v_lshlrev_b32_sdwa v27, v17, v1 dst_sel:DWORD dst_unused:UNUSED_PAD src0_sel:DWORD src1_sel:BYTE_1
	global_load_dwordx2 v[4:5], v9, s[12:13]
	global_load_dwordx2 v[28:29], v27, s[12:13] offset:2048
	v_add_u32_e32 v9, 42, v15
	v_mul_lo_u32 v9, v16, v9
	v_lshlrev_b32_sdwa v27, v17, v9 dst_sel:DWORD dst_unused:UNUSED_PAD src0_sel:DWORD src1_sel:BYTE_0
	global_load_dwordx2 v[30:31], v27, s[12:13]
	v_lshlrev_b32_sdwa v27, v17, v9 dst_sel:DWORD dst_unused:UNUSED_PAD src0_sel:DWORD src1_sel:BYTE_1
	global_load_dwordx2 v[32:33], v27, s[12:13] offset:2048
	v_add_u32_e32 v27, 0x54, v15
	v_mul_lo_u32 v27, v16, v27
	v_lshlrev_b32_sdwa v38, v17, v27 dst_sel:DWORD dst_unused:UNUSED_PAD src0_sel:DWORD src1_sel:BYTE_0
	v_lshlrev_b32_sdwa v39, v17, v27 dst_sel:DWORD dst_unused:UNUSED_PAD src0_sel:DWORD src1_sel:BYTE_1
	global_load_dwordx2 v[34:35], v38, s[12:13]
	global_load_dwordx2 v[36:37], v39, s[12:13] offset:2048
	v_add_u32_e32 v38, 0x7e, v15
	v_mul_lo_u32 v52, v16, v38
	v_lshlrev_b32_sdwa v42, v17, v52 dst_sel:DWORD dst_unused:UNUSED_PAD src0_sel:DWORD src1_sel:BYTE_0
	v_lshlrev_b32_sdwa v43, v17, v52 dst_sel:DWORD dst_unused:UNUSED_PAD src0_sel:DWORD src1_sel:BYTE_1
	global_load_dwordx2 v[38:39], v42, s[12:13]
	global_load_dwordx2 v[40:41], v43, s[12:13] offset:2048
	v_mov_b32_e32 v56, 0x1000
	v_bfe_u32 v1, v1, 16, 8
	v_lshl_or_b32 v1, v1, 3, v56
	global_load_dwordx2 v[42:43], v1, s[12:13]
	v_bfe_u32 v1, v9, 16, 8
	v_lshl_or_b32 v1, v1, 3, v56
	global_load_dwordx2 v[44:45], v1, s[12:13]
	v_add_u32_e32 v1, 0xa8, v15
	v_mul_lo_u32 v1, v16, v1
	v_lshlrev_b32_sdwa v9, v17, v1 dst_sel:DWORD dst_unused:UNUSED_PAD src0_sel:DWORD src1_sel:BYTE_0
	v_lshlrev_b32_sdwa v50, v17, v1 dst_sel:DWORD dst_unused:UNUSED_PAD src0_sel:DWORD src1_sel:BYTE_1
	global_load_dwordx2 v[46:47], v9, s[12:13]
	global_load_dwordx2 v[48:49], v50, s[12:13] offset:2048
	v_bfe_u32 v9, v27, 16, 8
	v_bfe_u32 v27, v52, 16, 8
	v_lshl_or_b32 v9, v9, 3, v56
	v_lshl_or_b32 v27, v27, 3, v56
	global_load_dwordx2 v[50:51], v9, s[12:13]
	global_load_dwordx2 v[52:53], v27, s[12:13]
	v_bfe_u32 v1, v1, 16, 8
	v_lshl_or_b32 v1, v1, 3, v56
	global_load_dwordx2 v[54:55], v1, s[12:13]
	v_mul_u32_u24_e32 v9, 7, v15
	v_lshlrev_b32_e32 v9, 3, v9
	s_mul_i32 s9, s9, s26
	s_mul_hi_u32 s14, s8, s26
	s_add_i32 s14, s14, s9
	s_mul_i32 s8, s8, s26
	s_add_u32 s8, s8, s50
	s_addc_u32 s9, s14, s33
	s_and_b64 s[14:15], s[2:3], vcc
	s_waitcnt vmcnt(13)
	v_mul_f32_e32 v1, v5, v29
	v_mul_f32_e32 v27, v4, v29
	v_fma_f32 v1, v4, v28, -v1
	v_fmac_f32_e32 v27, v5, v28
	s_waitcnt vmcnt(11)
	v_mul_f32_e32 v4, v31, v33
	v_mul_f32_e32 v5, v30, v33
	v_fma_f32 v4, v30, v32, -v4
	v_fmac_f32_e32 v5, v31, v32
	global_load_dwordx4 v[28:31], v9, s[24:25] offset:288
	s_waitcnt vmcnt(10)
	v_mul_f32_e32 v32, v35, v37
	v_mul_f32_e32 v57, v34, v37
	v_fma_f32 v58, v34, v36, -v32
	v_fmac_f32_e32 v57, v35, v36
	v_add_u32_e32 v36, 0xd2, v15
	s_waitcnt vmcnt(8)
	v_mul_f32_e32 v33, v39, v41
	v_mul_f32_e32 v41, v38, v41
	v_fma_f32 v38, v38, v40, -v33
	global_load_dwordx4 v[32:35], v9, s[24:25] offset:304
	s_waitcnt vmcnt(8)
	v_mul_f32_e32 v60, v1, v43
	v_fmac_f32_e32 v41, v39, v40
	v_mul_f32_e32 v37, v27, v43
	v_fmac_f32_e32 v60, v42, v27
	s_waitcnt vmcnt(7)
	v_mul_f32_e32 v27, v5, v45
	v_mul_f32_e32 v61, v4, v45
	v_fma_f32 v59, v42, v1, -v37
	v_fma_f32 v27, v44, v4, -v27
	s_waitcnt vmcnt(5)
	v_mul_f32_e32 v1, v46, v48
	v_fmac_f32_e32 v61, v44, v5
	v_fma_f32 v1, -v47, v49, v1
	v_mul_lo_u32 v39, v16, v36
	v_lshlrev_b32_sdwa v36, v17, v39 dst_sel:DWORD dst_unused:UNUSED_PAD src0_sel:DWORD src1_sel:BYTE_0
	s_waitcnt vmcnt(4)
	v_mul_f32_e32 v4, v57, v51
	v_mul_f32_e32 v51, v58, v51
	s_waitcnt vmcnt(3)
	v_mul_f32_e32 v5, v41, v53
	v_fma_f32 v58, v50, v58, -v4
	v_fmac_f32_e32 v51, v50, v57
	v_fma_f32 v50, v52, v38, -v5
	v_pk_mul_f32 v[4:5], v[46:47], v[48:49] op_sel:[1,0] op_sel_hi:[0,1]
	v_add_f32_e32 v4, v4, v5
	s_waitcnt vmcnt(2)
	v_mul_f32_e32 v40, v1, v55
	v_mul_f32_e32 v5, v4, v55
	v_fmac_f32_e32 v40, v54, v4
	v_mov_b32_e32 v4, v19
	v_mul_f32_e32 v53, v38, v53
	v_fma_f32 v38, v54, v1, -v5
	global_load_dwordx2 v[36:37], v36, s[12:13]
	v_fmac_f32_e32 v53, v52, v41
	s_waitcnt vmcnt(2)
	v_pk_mul_f32 v[4:5], v[4:5], v[28:29] op_sel_hi:[0,1]
	v_pk_fma_f32 v[42:43], v[6:7], v[28:29], v[4:5] op_sel:[0,0,1] op_sel_hi:[1,1,0]
	v_pk_fma_f32 v[4:5], v[6:7], v[28:29], v[4:5] op_sel:[0,0,1] op_sel_hi:[0,1,0] neg_lo:[1,0,0] neg_hi:[1,0,0]
	v_mov_b32_e32 v4, v21
	v_pk_mul_f32 v[28:29], v[4:5], v[30:31] op_sel_hi:[0,1]
	v_mov_b32_e32 v4, v23
	v_pk_fma_f32 v[44:45], v[12:13], v[30:31], v[28:29] op_sel:[0,0,1] op_sel_hi:[1,1,0]
	v_pk_fma_f32 v[46:47], v[12:13], v[30:31], v[28:29] op_sel:[0,0,1] op_sel_hi:[0,1,0] neg_lo:[1,0,0] neg_hi:[1,0,0]
	v_mov_b32_e32 v43, v5
	s_waitcnt vmcnt(1)
	v_pk_mul_f32 v[28:29], v[4:5], v[32:33] op_sel_hi:[0,1]
	v_mov_b32_e32 v4, v11
	v_pk_mul_f32 v[30:31], v[4:5], v[34:35] op_sel_hi:[0,1]
	v_pk_fma_f32 v[48:49], v[22:23], v[34:35], v[30:31] op_sel:[0,0,1] op_sel_hi:[1,1,0]
	v_pk_fma_f32 v[22:23], v[22:23], v[34:35], v[30:31] op_sel:[0,0,1] op_sel_hi:[0,1,0] neg_lo:[1,0,0] neg_hi:[1,0,0]
	v_pk_fma_f32 v[34:35], v[10:11], v[32:33], v[28:29] op_sel:[0,0,1] op_sel_hi:[1,1,0]
	v_pk_fma_f32 v[10:11], v[10:11], v[32:33], v[28:29] op_sel:[0,0,1] op_sel_hi:[0,1,0] neg_lo:[1,0,0] neg_hi:[1,0,0]
	global_load_dwordx4 v[28:31], v9, s[24:25] offset:320
	global_load_dwordx2 v[4:5], v9, s[24:25] offset:336
	v_mov_b32_e32 v6, v13
	v_mov_b32_e32 v35, v11
	;; [unrolled: 1-line block ×4, first 2 shown]
	s_waitcnt vmcnt(1)
	v_pk_mul_f32 v[10:11], v[6:7], v[28:29] op_sel_hi:[0,1]
	v_mov_b32_e32 v6, v7
	v_pk_fma_f32 v[12:13], v[20:21], v[28:29], v[10:11] op_sel:[0,0,1] op_sel_hi:[1,1,0]
	v_pk_fma_f32 v[10:11], v[20:21], v[28:29], v[10:11] op_sel:[0,0,1] op_sel_hi:[0,1,0] neg_lo:[1,0,0] neg_hi:[1,0,0]
	v_pk_mul_f32 v[6:7], v[6:7], v[30:31] op_sel_hi:[0,1]
	v_mov_b32_e32 v13, v11
	v_pk_fma_f32 v[10:11], v[18:19], v[30:31], v[6:7] op_sel:[0,0,1] op_sel_hi:[1,1,0]
	v_pk_fma_f32 v[6:7], v[18:19], v[30:31], v[6:7] op_sel:[0,0,1] op_sel_hi:[0,1,0] neg_lo:[1,0,0] neg_hi:[1,0,0]
	s_waitcnt vmcnt(0)
	v_pk_mul_f32 v[0:1], v[0:1], v[4:5] op_sel_hi:[0,1]
	v_mov_b32_e32 v11, v7
	v_pk_fma_f32 v[6:7], v[8:9], v[4:5], v[0:1] op_sel:[0,0,1] op_sel_hi:[1,1,0]
	v_pk_fma_f32 v[0:1], v[8:9], v[4:5], v[0:1] op_sel:[0,0,1] op_sel_hi:[0,1,0] neg_lo:[1,0,0] neg_hi:[1,0,0]
	v_lshlrev_b32_sdwa v4, v17, v39 dst_sel:DWORD dst_unused:UNUSED_PAD src0_sel:DWORD src1_sel:BYTE_1
	global_load_dwordx2 v[8:9], v4, s[12:13] offset:2048
	v_bfe_u32 v4, v39, 16, 8
	v_lshl_or_b32 v4, v4, 3, v56
	global_load_dwordx2 v[18:19], v4, s[12:13]
	v_add_u32_e32 v20, 0xfc, v15
	v_mul_lo_u32 v28, v16, v20
	v_lshlrev_b32_sdwa v29, v17, v28 dst_sel:DWORD dst_unused:UNUSED_PAD src0_sel:DWORD src1_sel:BYTE_0
	v_lshlrev_b32_sdwa v30, v17, v28 dst_sel:DWORD dst_unused:UNUSED_PAD src0_sel:DWORD src1_sel:BYTE_1
	global_load_dwordx2 v[20:21], v29, s[12:13]
	global_load_dwordx2 v[22:23], v30, s[12:13] offset:2048
	v_bfe_u32 v28, v28, 16, 8
	v_lshl_or_b32 v28, v28, 3, v56
	global_load_dwordx2 v[28:29], v28, s[12:13]
	v_add_u32_e32 v15, 0x126, v15
	v_mul_lo_u32 v15, v16, v15
	v_pk_add_f32 v[12:13], v[42:43], v[12:13] neg_lo:[0,1] neg_hi:[0,1]
	v_lshlrev_b32_sdwa v16, v17, v15 dst_sel:DWORD dst_unused:UNUSED_PAD src0_sel:DWORD src1_sel:BYTE_0
	v_mov_b32_e32 v7, v1
	v_pk_fma_f32 v[30:31], v[42:43], 2.0, v[12:13] op_sel_hi:[1,0,1] neg_lo:[0,0,1] neg_hi:[0,0,1]
	v_lshlrev_b32_sdwa v17, v17, v15 dst_sel:DWORD dst_unused:UNUSED_PAD src0_sel:DWORD src1_sel:BYTE_1
	global_load_dwordx2 v[32:33], v16, s[12:13]
	global_load_dwordx2 v[42:43], v17, s[12:13] offset:2048
	v_bfe_u32 v15, v15, 16, 8
	v_pk_add_f32 v[6:7], v[34:35], v[6:7] neg_lo:[0,1] neg_hi:[0,1]
	v_lshl_or_b32 v15, v15, 3, v56
	v_pk_fma_f32 v[16:17], v[34:35], 2.0, v[6:7] op_sel_hi:[1,0,1] neg_lo:[0,0,1] neg_hi:[0,0,1]
	global_load_dwordx2 v[34:35], v15, s[12:13]
	v_pk_add_f32 v[0:1], v[2:3], v[48:49] neg_lo:[0,1] neg_hi:[0,1]
	v_pk_add_f32 v[4:5], v[44:45], v[10:11] neg_lo:[0,1] neg_hi:[0,1]
	v_pk_fma_f32 v[2:3], v[2:3], 2.0, v[0:1] op_sel_hi:[1,0,1] neg_lo:[0,0,1] neg_hi:[0,0,1]
	v_add_f32_e32 v15, v0, v5
	v_sub_f32_e32 v39, v1, v4
	v_pk_fma_f32 v[10:11], v[44:45], 2.0, v[4:5] op_sel_hi:[1,0,1] neg_lo:[0,0,1] neg_hi:[0,0,1]
	v_fma_f32 v41, v0, 2.0, -v15
	v_fma_f32 v44, v1, 2.0, -v39
	v_pk_add_f32 v[0:1], v[30:31], v[16:17] neg_lo:[0,1] neg_hi:[0,1]
	v_sub_f32_e32 v17, v13, v6
	v_pk_add_f32 v[10:11], v[2:3], v[10:11] neg_lo:[0,1] neg_hi:[0,1]
	v_add_f32_e32 v16, v12, v7
	v_fma_f32 v13, v13, 2.0, -v17
	v_pk_fma_f32 v[2:3], v[2:3], 2.0, v[10:11] op_sel_hi:[1,0,1] neg_lo:[0,0,1] neg_hi:[0,0,1]
	v_pk_fma_f32 v[4:5], v[30:31], 2.0, v[0:1] op_sel_hi:[1,0,1] neg_lo:[0,0,1] neg_hi:[0,0,1]
	v_fma_f32 v12, v12, 2.0, -v16
	v_fmamk_f32 v31, v13, 0xbf3504f3, v44
	v_pk_add_f32 v[6:7], v[2:3], v[4:5] neg_lo:[0,1] neg_hi:[0,1]
	v_fmamk_f32 v30, v12, 0xbf3504f3, v41
	v_fmac_f32_e32 v31, 0xbf3504f3, v12
	v_fma_f32 v3, v3, 2.0, -v7
	v_fmac_f32_e32 v30, 0x3f3504f3, v13
	v_fma_f32 v5, v44, 2.0, -v31
	v_sub_f32_e32 v44, v11, v0
	v_fmamk_f32 v46, v17, 0x3f3504f3, v39
	v_fma_f32 v2, v2, 2.0, -v6
	v_fma_f32 v4, v41, 2.0, -v30
	v_add_f32_e32 v41, v10, v1
	v_fma_f32 v1, v11, 2.0, -v44
	v_fmamk_f32 v45, v16, 0x3f3504f3, v15
	v_fmac_f32_e32 v46, 0xbf3504f3, v16
	v_mul_f32_e32 v16, v3, v60
	v_fma_f32 v0, v10, 2.0, -v41
	v_fmac_f32_e32 v45, 0x3f3504f3, v17
	v_fmac_f32_e32 v16, v2, v59
	v_mul_f32_e32 v2, v2, v60
	v_mul_f32_e32 v10, v1, v51
	v_fma_f32 v15, v15, 2.0, -v45
	v_fma_f32 v17, v3, v59, -v2
	v_mul_f32_e32 v2, v4, v61
	v_fmac_f32_e32 v10, v0, v58
	v_mul_f32_e32 v0, v0, v51
	v_fma_f32 v39, v39, 2.0, -v46
	v_fma_f32 v13, v5, v27, -v2
	v_fma_f32 v11, v1, v58, -v0
	v_mul_f32_e32 v0, v15, v53
	v_pk_mul_f32 v[2:3], v[6:7], v[40:41] op_sel_hi:[1,0]
	v_mul_f32_e32 v12, v5, v61
	v_fma_f32 v5, v39, v50, -v0
	v_pk_fma_f32 v[0:1], v[6:7], v[38:39], v[2:3] op_sel:[0,0,1] op_sel_hi:[1,1,0]
	v_pk_fma_f32 v[2:3], v[6:7], v[38:39], v[2:3] op_sel:[0,0,1] op_sel_hi:[1,0,0] neg_lo:[0,0,1] neg_hi:[0,0,1]
	v_fmac_f32_e32 v12, v4, v27
	v_mov_b32_e32 v1, v3
	v_mul_f32_e32 v4, v39, v53
	v_fmac_f32_e32 v4, v15, v50
	s_waitcnt vmcnt(7)
	v_mul_f32_e32 v2, v37, v9
	v_fma_f32 v2, v36, v8, -v2
	v_mul_f32_e32 v3, v36, v9
	v_fmac_f32_e32 v3, v37, v8
	s_waitcnt vmcnt(6)
	v_mul_f32_e32 v7, v2, v19
	v_mul_f32_e32 v6, v3, v19
	v_fmac_f32_e32 v7, v18, v3
	v_fma_f32 v6, v18, v2, -v6
	v_mul_f32_e32 v2, v31, v7
	v_mul_f32_e32 v3, v30, v7
	v_fmac_f32_e32 v2, v30, v6
	v_fma_f32 v3, v31, v6, -v3
	s_waitcnt vmcnt(4)
	v_mul_f32_e32 v6, v21, v23
	v_fma_f32 v6, v20, v22, -v6
	v_mul_f32_e32 v7, v20, v23
	v_fmac_f32_e32 v7, v21, v22
	s_waitcnt vmcnt(3)
	v_mul_f32_e32 v9, v6, v29
	v_mul_f32_e32 v8, v7, v29
	v_fmac_f32_e32 v9, v28, v7
	v_fma_f32 v8, v28, v6, -v8
	v_mul_f32_e32 v6, v44, v9
	v_mul_f32_e32 v7, v41, v9
	v_fmac_f32_e32 v6, v41, v8
	v_fma_f32 v7, v44, v8, -v7
	;; [unrolled: 14-line block ×3, first 2 shown]
	v_add_u32_e32 v15, 42, v24
	s_and_saveexec_b64 s[12:13], s[14:15]
	s_cbranch_execz .LBB0_32
; %bb.31:
	v_mad_u64_u32 v[18:19], s[14:15], s6, v14, 0
	v_mov_b32_e32 v20, v19
	v_mad_u64_u32 v[20:21], s[14:15], s7, v14, v[20:21]
	v_mov_b32_e32 v19, v20
	;; [unrolled: 2-line block ×3, first 2 shown]
	v_mad_u64_u32 v[22:23], s[14:15], s5, v25, v[22:23]
	s_lshl_b64 s[14:15], s[8:9], 3
	s_add_u32 s14, s10, s14
	s_addc_u32 s15, s11, s15
	v_mov_b32_e32 v21, v22
	v_lshl_add_u64 v[18:19], v[18:19], 3, s[14:15]
	v_lshl_add_u64 v[20:21], v[20:21], 3, v[18:19]
	global_store_dwordx2 v[20:21], v[16:17], off
	v_mad_u64_u32 v[20:21], s[14:15], s4, v15, 0
	v_mov_b32_e32 v22, v21
	v_mad_u64_u32 v[22:23], s[14:15], s5, v15, v[22:23]
	v_mov_b32_e32 v21, v22
	v_lshl_add_u64 v[20:21], v[20:21], 3, v[18:19]
	v_add_u32_e32 v23, 0x54, v24
	global_store_dwordx2 v[20:21], v[12:13], off
	v_mad_u64_u32 v[20:21], s[14:15], s4, v23, 0
	v_mov_b32_e32 v22, v21
	v_mad_u64_u32 v[22:23], s[14:15], s5, v23, v[22:23]
	v_mov_b32_e32 v21, v22
	v_lshl_add_u64 v[20:21], v[20:21], 3, v[18:19]
	v_add_u32_e32 v23, 0x7e, v24
	global_store_dwordx2 v[20:21], v[10:11], off
	v_mad_u64_u32 v[20:21], s[14:15], s4, v23, 0
	v_mov_b32_e32 v22, v21
	v_mad_u64_u32 v[22:23], s[14:15], s5, v23, v[22:23]
	v_mov_b32_e32 v21, v22
	v_lshl_add_u64 v[20:21], v[20:21], 3, v[18:19]
	global_store_dwordx2 v[20:21], v[4:5], off
	v_mad_u64_u32 v[20:21], s[14:15], s4, v26, 0
	v_mov_b32_e32 v22, v21
	v_mad_u64_u32 v[22:23], s[14:15], s5, v26, v[22:23]
	v_mov_b32_e32 v21, v22
	v_lshl_add_u64 v[20:21], v[20:21], 3, v[18:19]
	v_add_u32_e32 v23, 0xd2, v24
	global_store_dwordx2 v[20:21], v[0:1], off
	v_mad_u64_u32 v[20:21], s[14:15], s4, v23, 0
	v_mov_b32_e32 v22, v21
	v_mad_u64_u32 v[22:23], s[14:15], s5, v23, v[22:23]
	v_mov_b32_e32 v21, v22
	v_lshl_add_u64 v[20:21], v[20:21], 3, v[18:19]
	v_add_u32_e32 v23, 0xfc, v24
	;; [unrolled: 7-line block ×3, first 2 shown]
	global_store_dwordx2 v[20:21], v[6:7], off
	v_mad_u64_u32 v[20:21], s[14:15], s4, v23, 0
	v_mov_b32_e32 v22, v21
	v_mad_u64_u32 v[22:23], s[14:15], s5, v23, v[22:23]
	v_mov_b32_e32 v21, v22
	v_lshl_add_u64 v[18:19], v[20:21], 3, v[18:19]
	global_store_dwordx2 v[18:19], v[8:9], off
.LBB0_32:
	s_or_b64 exec, exec, s[12:13]
	s_xor_b64 s[12:13], vcc, -1
	s_and_b64 s[0:1], s[2:3], s[0:1]
	s_and_b64 s[0:1], s[12:13], s[0:1]
	s_and_saveexec_b64 s[2:3], s[0:1]
	s_cbranch_execz .LBB0_34
; %bb.33:
	v_mad_u64_u32 v[18:19], s[0:1], s6, v14, 0
	v_mov_b32_e32 v20, v19
	v_mad_u64_u32 v[20:21], s[0:1], s7, v14, v[20:21]
	v_mov_b32_e32 v19, v20
	;; [unrolled: 2-line block ×3, first 2 shown]
	v_mad_u64_u32 v[22:23], s[0:1], s5, v25, v[14:15]
	s_lshl_b64 s[0:1], s[8:9], 3
	s_add_u32 s0, s10, s0
	s_addc_u32 s1, s11, s1
	v_mov_b32_e32 v21, v22
	v_lshl_add_u64 v[18:19], v[18:19], 3, s[0:1]
	v_lshl_add_u64 v[20:21], v[20:21], 3, v[18:19]
	global_store_dwordx2 v[20:21], v[16:17], off
	v_mad_u64_u32 v[16:17], s[0:1], s4, v15, 0
	v_mov_b32_e32 v14, v17
	v_mad_u64_u32 v[14:15], s[0:1], s5, v15, v[14:15]
	v_mov_b32_e32 v17, v14
	v_lshl_add_u64 v[14:15], v[16:17], 3, v[18:19]
	global_store_dwordx2 v[14:15], v[12:13], off
	v_add_u32_e32 v15, 0x54, v24
	v_mad_u64_u32 v[12:13], s[0:1], s4, v15, 0
	v_mov_b32_e32 v14, v13
	v_mad_u64_u32 v[14:15], s[0:1], s5, v15, v[14:15]
	v_mov_b32_e32 v13, v14
	v_lshl_add_u64 v[12:13], v[12:13], 3, v[18:19]
	global_store_dwordx2 v[12:13], v[10:11], off
	v_add_u32_e32 v13, 0x7e, v24
	v_mad_u64_u32 v[10:11], s[0:1], s4, v13, 0
	v_mov_b32_e32 v12, v11
	v_mad_u64_u32 v[12:13], s[0:1], s5, v13, v[12:13]
	v_mov_b32_e32 v11, v12
	v_lshl_add_u64 v[10:11], v[10:11], 3, v[18:19]
	global_store_dwordx2 v[10:11], v[4:5], off
	v_mad_u64_u32 v[4:5], s[0:1], s4, v26, 0
	v_mov_b32_e32 v10, v5
	v_mad_u64_u32 v[10:11], s[0:1], s5, v26, v[10:11]
	v_mov_b32_e32 v5, v10
	v_lshl_add_u64 v[4:5], v[4:5], 3, v[18:19]
	global_store_dwordx2 v[4:5], v[0:1], off
	v_add_u32_e32 v5, 0xd2, v24
	v_mad_u64_u32 v[0:1], s[0:1], s4, v5, 0
	v_mov_b32_e32 v4, v1
	v_mad_u64_u32 v[4:5], s[0:1], s5, v5, v[4:5]
	v_mov_b32_e32 v1, v4
	v_lshl_add_u64 v[0:1], v[0:1], 3, v[18:19]
	global_store_dwordx2 v[0:1], v[2:3], off
	v_add_u32_e32 v3, 0xfc, v24
	v_mad_u64_u32 v[0:1], s[0:1], s4, v3, 0
	v_mov_b32_e32 v2, v1
	v_mad_u64_u32 v[2:3], s[0:1], s5, v3, v[2:3]
	v_mov_b32_e32 v1, v2
	v_lshl_add_u64 v[0:1], v[0:1], 3, v[18:19]
	v_add_u32_e32 v3, 0x126, v24
	global_store_dwordx2 v[0:1], v[6:7], off
	v_mad_u64_u32 v[0:1], s[0:1], s4, v3, 0
	v_mov_b32_e32 v2, v1
	v_mad_u64_u32 v[2:3], s[0:1], s5, v3, v[2:3]
	v_mov_b32_e32 v1, v2
	v_lshl_add_u64 v[0:1], v[0:1], 3, v[18:19]
	global_store_dwordx2 v[0:1], v[8:9], off
.LBB0_34:
	s_endpgm
	.section	.rodata,"a",@progbits
	.p2align	6, 0x0
	.amdhsa_kernel fft_rtc_back_len336_factors_6_7_8_wgs_336_tpt_56_sp_op_CI_CI_sbcc_twdbase8_3step_dirReg_intrinsicRead
		.amdhsa_group_segment_fixed_size 0
		.amdhsa_private_segment_fixed_size 0
		.amdhsa_kernarg_size 112
		.amdhsa_user_sgpr_count 2
		.amdhsa_user_sgpr_dispatch_ptr 0
		.amdhsa_user_sgpr_queue_ptr 0
		.amdhsa_user_sgpr_kernarg_segment_ptr 1
		.amdhsa_user_sgpr_dispatch_id 0
		.amdhsa_user_sgpr_kernarg_preload_length 0
		.amdhsa_user_sgpr_kernarg_preload_offset 0
		.amdhsa_user_sgpr_private_segment_size 0
		.amdhsa_uses_dynamic_stack 0
		.amdhsa_enable_private_segment 0
		.amdhsa_system_sgpr_workgroup_id_x 1
		.amdhsa_system_sgpr_workgroup_id_y 0
		.amdhsa_system_sgpr_workgroup_id_z 0
		.amdhsa_system_sgpr_workgroup_info 0
		.amdhsa_system_vgpr_workitem_id 0
		.amdhsa_next_free_vgpr 62
		.amdhsa_next_free_sgpr 55
		.amdhsa_accum_offset 64
		.amdhsa_reserve_vcc 1
		.amdhsa_float_round_mode_32 0
		.amdhsa_float_round_mode_16_64 0
		.amdhsa_float_denorm_mode_32 3
		.amdhsa_float_denorm_mode_16_64 3
		.amdhsa_dx10_clamp 1
		.amdhsa_ieee_mode 1
		.amdhsa_fp16_overflow 0
		.amdhsa_tg_split 0
		.amdhsa_exception_fp_ieee_invalid_op 0
		.amdhsa_exception_fp_denorm_src 0
		.amdhsa_exception_fp_ieee_div_zero 0
		.amdhsa_exception_fp_ieee_overflow 0
		.amdhsa_exception_fp_ieee_underflow 0
		.amdhsa_exception_fp_ieee_inexact 0
		.amdhsa_exception_int_div_zero 0
	.end_amdhsa_kernel
	.text
.Lfunc_end0:
	.size	fft_rtc_back_len336_factors_6_7_8_wgs_336_tpt_56_sp_op_CI_CI_sbcc_twdbase8_3step_dirReg_intrinsicRead, .Lfunc_end0-fft_rtc_back_len336_factors_6_7_8_wgs_336_tpt_56_sp_op_CI_CI_sbcc_twdbase8_3step_dirReg_intrinsicRead
                                        ; -- End function
	.section	.AMDGPU.csdata,"",@progbits
; Kernel info:
; codeLenInByte = 6276
; NumSgprs: 61
; NumVgprs: 62
; NumAgprs: 0
; TotalNumVgprs: 62
; ScratchSize: 0
; MemoryBound: 0
; FloatMode: 240
; IeeeMode: 1
; LDSByteSize: 0 bytes/workgroup (compile time only)
; SGPRBlocks: 7
; VGPRBlocks: 7
; NumSGPRsForWavesPerEU: 61
; NumVGPRsForWavesPerEU: 62
; AccumOffset: 64
; Occupancy: 8
; WaveLimiterHint : 1
; COMPUTE_PGM_RSRC2:SCRATCH_EN: 0
; COMPUTE_PGM_RSRC2:USER_SGPR: 2
; COMPUTE_PGM_RSRC2:TRAP_HANDLER: 0
; COMPUTE_PGM_RSRC2:TGID_X_EN: 1
; COMPUTE_PGM_RSRC2:TGID_Y_EN: 0
; COMPUTE_PGM_RSRC2:TGID_Z_EN: 0
; COMPUTE_PGM_RSRC2:TIDIG_COMP_CNT: 0
; COMPUTE_PGM_RSRC3_GFX90A:ACCUM_OFFSET: 15
; COMPUTE_PGM_RSRC3_GFX90A:TG_SPLIT: 0
	.text
	.p2alignl 6, 3212836864
	.fill 256, 4, 3212836864
	.type	__hip_cuid_a22a0682937da51a,@object ; @__hip_cuid_a22a0682937da51a
	.section	.bss,"aw",@nobits
	.globl	__hip_cuid_a22a0682937da51a
__hip_cuid_a22a0682937da51a:
	.byte	0                               ; 0x0
	.size	__hip_cuid_a22a0682937da51a, 1

	.ident	"AMD clang version 19.0.0git (https://github.com/RadeonOpenCompute/llvm-project roc-6.4.0 25133 c7fe45cf4b819c5991fe208aaa96edf142730f1d)"
	.section	".note.GNU-stack","",@progbits
	.addrsig
	.addrsig_sym __hip_cuid_a22a0682937da51a
	.amdgpu_metadata
---
amdhsa.kernels:
  - .agpr_count:     0
    .args:
      - .actual_access:  read_only
        .address_space:  global
        .offset:         0
        .size:           8
        .value_kind:     global_buffer
      - .address_space:  global
        .offset:         8
        .size:           8
        .value_kind:     global_buffer
      - .offset:         16
        .size:           8
        .value_kind:     by_value
      - .actual_access:  read_only
        .address_space:  global
        .offset:         24
        .size:           8
        .value_kind:     global_buffer
      - .actual_access:  read_only
        .address_space:  global
        .offset:         32
        .size:           8
        .value_kind:     global_buffer
      - .actual_access:  read_only
        .address_space:  global
        .offset:         40
        .size:           8
        .value_kind:     global_buffer
      - .offset:         48
        .size:           8
        .value_kind:     by_value
      - .actual_access:  read_only
        .address_space:  global
        .offset:         56
        .size:           8
        .value_kind:     global_buffer
      - .actual_access:  read_only
        .address_space:  global
        .offset:         64
        .size:           8
        .value_kind:     global_buffer
      - .offset:         72
        .size:           4
        .value_kind:     by_value
      - .actual_access:  read_only
        .address_space:  global
        .offset:         80
        .size:           8
        .value_kind:     global_buffer
      - .actual_access:  read_only
        .address_space:  global
        .offset:         88
        .size:           8
        .value_kind:     global_buffer
      - .actual_access:  read_only
        .address_space:  global
        .offset:         96
        .size:           8
        .value_kind:     global_buffer
      - .actual_access:  write_only
        .address_space:  global
        .offset:         104
        .size:           8
        .value_kind:     global_buffer
    .group_segment_fixed_size: 0
    .kernarg_segment_align: 8
    .kernarg_segment_size: 112
    .language:       OpenCL C
    .language_version:
      - 2
      - 0
    .max_flat_workgroup_size: 336
    .name:           fft_rtc_back_len336_factors_6_7_8_wgs_336_tpt_56_sp_op_CI_CI_sbcc_twdbase8_3step_dirReg_intrinsicRead
    .private_segment_fixed_size: 0
    .sgpr_count:     61
    .sgpr_spill_count: 0
    .symbol:         fft_rtc_back_len336_factors_6_7_8_wgs_336_tpt_56_sp_op_CI_CI_sbcc_twdbase8_3step_dirReg_intrinsicRead.kd
    .uniform_work_group_size: 1
    .uses_dynamic_stack: false
    .vgpr_count:     62
    .vgpr_spill_count: 0
    .wavefront_size: 64
amdhsa.target:   amdgcn-amd-amdhsa--gfx950
amdhsa.version:
  - 1
  - 2
...

	.end_amdgpu_metadata
